;; amdgpu-corpus repo=ROCm/rocm-examples kind=compiled arch=gfx950 opt=O3
	.amdgcn_target "amdgcn-amd-amdhsa--gfx950"
	.amdhsa_code_object_version 6
	.text
	.protected	_Z15sgemm_rocwmma_djjjPKfS0_S0_Pfjjjjff ; -- Begin function _Z15sgemm_rocwmma_djjjPKfS0_S0_Pfjjjjff
	.globl	_Z15sgemm_rocwmma_djjjPKfS0_S0_Pfjjjjff
	.p2align	8
	.type	_Z15sgemm_rocwmma_djjjPKfS0_S0_Pfjjjjff,@function
_Z15sgemm_rocwmma_djjjPKfS0_S0_Pfjjjjff: ; @_Z15sgemm_rocwmma_djjjPKfS0_S0_Pfjjjjff
; %bb.0:
	s_load_dwordx4 s[16:19], s[0:1], 0x0
	v_bfe_u32 v1, v0, 10, 10
	v_and_b32_e32 v4, 0xc0, v0
	v_lshlrev_b32_e32 v5, 6, v1
	s_lshl_b32 s20, s2, 7
	s_lshl_b32 s22, s3, 7
	v_add_u32_e32 v69, s20, v4
	v_add_u32_e32 v68, s22, v5
	;; [unrolled: 1-line block ×4, first 2 shown]
	s_waitcnt lgkmcnt(0)
	v_cmp_ge_u32_e32 vcc, s16, v2
	v_cmp_ge_u32_e64 s[2:3], s17, v3
	s_and_b64 s[2:3], vcc, s[2:3]
	s_and_saveexec_b64 s[4:5], s[2:3]
	s_cbranch_execz .LBB0_5
; %bb.1:
	v_and_b32_e32 v32, 0x3ff, v0
	v_lshrrev_b32_e32 v0, 5, v32
	s_load_dwordx8 s[4:11], s[0:1], 0x10
	s_load_dwordx4 s[12:15], s[0:1], 0x30
	s_load_dwordx2 s[2:3], s[0:1], 0x40
	v_and_b32_e32 v0, 30, v0
	v_add_u32_e32 v7, v0, v1
	v_lshlrev_b32_e32 v0, 3, v32
	s_mov_b32 s21, 0
	v_and_b32_e32 v6, 0x78, v0
	v_bfe_u32 v0, v32, 4, 2
	s_lshl_b64 s[0:1], s[20:21], 2
	v_lshl_or_b32 v8, v7, 2, v0
	s_waitcnt lgkmcnt(0)
	s_add_u32 s0, s4, s0
	v_mad_u64_u32 v[0:1], s[16:17], s12, v8, v[6:7]
	s_addc_u32 s1, s5, s1
	v_mov_b32_e32 v1, 0
	s_mov_b32 s23, s21
	v_lshl_add_u64 v[2:3], v[0:1], 2, s[0:1]
	s_lshl_b64 s[0:1], s[22:23], 2
	global_load_dwordx4 v[10:13], v[2:3], off
	global_load_dwordx4 v[14:17], v[2:3], off offset:16
	s_add_u32 s0, s6, s0
	v_mad_u64_u32 v[2:3], s[16:17], s13, v8, v[6:7]
	s_addc_u32 s1, s7, s1
	v_mov_b32_e32 v3, v1
	v_lshl_add_u64 v[8:9], v[2:3], 2, s[0:1]
	global_load_dwordx4 v[18:21], v[8:9], off offset:16
	global_load_dwordx4 v[22:25], v[8:9], off
	v_lshlrev_b32_e32 v8, 4, v32
	v_lshlrev_b32_e32 v7, 10, v7
	v_and_b32_e32 v8, 0x300, v8
	v_or3_b32 v7, v7, v8, v6
	v_lshl_add_u32 v6, v7, 2, 0
	s_movk_i32 s0, 0xc00
	v_accvgpr_write_b32 a60, 0
	v_accvgpr_write_b32 a61, 0
	;; [unrolled: 1-line block ×59, first 2 shown]
	s_waitcnt vmcnt(2)
	ds_write_b128 v6, v[14:17] offset:16
	ds_write_b128 v6, v[10:13]
	s_waitcnt vmcnt(1)
	ds_write_b128 v6, v[18:21] offset:528
	s_waitcnt vmcnt(0)
	ds_write_b128 v6, v[22:25] offset:512
	v_lshlrev_b32_e32 v6, 2, v32
	v_and_b32_e32 v70, 60, v6
	v_lshlrev_b32_e32 v6, 6, v32
	v_and_or_b32 v8, v6, s0, v70
	v_accvgpr_write_b32 a3, 0
	v_accvgpr_write_b32 a12, 0
	;; [unrolled: 1-line block ×5, first 2 shown]
	s_cmp_lt_u32 s18, 17
	v_lshlrev_b32_e32 v6, 2, v4
	v_lshlrev_b32_e32 v4, 2, v8
	;; [unrolled: 1-line block ×3, first 2 shown]
	s_waitcnt lgkmcnt(0)
	s_barrier
	s_cbranch_scc1 .LBB0_4
; %bb.2:
	s_lshl_b32 s12, s12, 4
	s_lshl_b32 s13, s13, 4
	s_mov_b32 s1, 0
	v_lshl_add_u64 v[0:1], v[0:1], 2, s[4:5]
	v_lshl_add_u64 v[2:3], v[2:3], 2, s[6:7]
	s_add_i32 s0, s20, s12
	s_add_i32 s6, 0, 0x4000
	;; [unrolled: 1-line block ×3, first 2 shown]
	v_accvgpr_write_b32 a15, 0
	v_accvgpr_write_b32 a14, 0
	;; [unrolled: 1-line block ×64, first 2 shown]
	s_mov_b32 s7, 16
	s_mov_b32 s5, s1
.LBB0_3:                                ; =>This Inner Loop Header: Depth=1
	s_mov_b32 s21, s6
	s_mov_b32 s6, s5
	v_add3_u32 v24, s6, v6, v4
	v_add3_u32 v25, s6, v5, v4
	ds_read_b128 v[8:11], v24
	ds_read_b128 v[12:15], v25 offset:512
	ds_read_b128 v[16:19], v24 offset:1024
	;; [unrolled: 1-line block ×3, first 2 shown]
	s_waitcnt lgkmcnt(2)
	v_mfma_f32_16x16x4_f32 a[60:63], v8, v12, a[60:63]
	s_mov_b32 s5, s1
	s_add_i32 s7, s7, 16
	v_mfma_f32_16x16x4_f32 a[56:59], v8, v13, a[56:59]
	v_mfma_f32_16x16x4_f32 a[52:55], v8, v14, a[52:55]
	;; [unrolled: 1-line block ×15, first 2 shown]
	s_waitcnt lgkmcnt(0)
	v_mfma_f32_16x16x4_f32 a[60:63], v16, v20, a[60:63]
	v_mfma_f32_16x16x4_f32 a[56:59], v16, v21, a[56:59]
	;; [unrolled: 1-line block ×16, first 2 shown]
	ds_read_b128 v[8:11], v24 offset:2048
	ds_read_b128 v[12:15], v25 offset:2560
	ds_read_b128 v[16:19], v24 offset:3072
	ds_read_b128 v[20:23], v25 offset:3584
	s_waitcnt lgkmcnt(2)
	v_mfma_f32_16x16x4_f32 a[60:63], v8, v12, a[60:63]
	v_mfma_f32_16x16x4_f32 a[56:59], v8, v13, a[56:59]
	;; [unrolled: 1-line block ×8, first 2 shown]
	v_lshl_add_u64 v[8:9], s[0:1], 2, v[0:1]
	s_add_i32 s0, s0, s12
	v_mfma_f32_16x16x4_f32 a[28:31], v10, v12, a[28:31]
	v_mfma_f32_16x16x4_f32 a[24:27], v10, v13, a[24:27]
	;; [unrolled: 1-line block ×8, first 2 shown]
	s_waitcnt lgkmcnt(0)
	v_mfma_f32_16x16x4_f32 a[60:63], v16, v20, a[60:63]
	v_mfma_f32_16x16x4_f32 a[56:59], v16, v21, a[56:59]
	v_mfma_f32_16x16x4_f32 a[52:55], v16, v22, a[52:55]
	v_mfma_f32_16x16x4_f32 a[48:51], v16, v23, a[48:51]
	v_mfma_f32_16x16x4_f32 a[44:47], v17, v20, a[44:47]
	v_mfma_f32_16x16x4_f32 a[40:43], v17, v21, a[40:43]
	v_mfma_f32_16x16x4_f32 a[36:39], v17, v22, a[36:39]
	v_mfma_f32_16x16x4_f32 a[32:35], v17, v23, a[32:35]
	global_load_dwordx4 v[10:13], v[8:9], off
	global_load_dwordx4 v[14:17], v[8:9], off offset:16
	v_lshl_add_u64 v[8:9], s[4:5], 2, v[2:3]
	global_load_dwordx4 v[24:27], v[8:9], off offset:16
	global_load_dwordx4 v[28:31], v[8:9], off
	s_add_i32 s4, s4, s13
	v_lshl_add_u32 v8, v7, 2, s21
	s_mov_b32 s5, s21
	v_mfma_f32_16x16x4_f32 a[28:31], v18, v20, a[28:31]
	s_cmp_ge_u32 s7, s18
	s_waitcnt vmcnt(2)
	ds_write_b128 v8, v[14:17] offset:16
	ds_write_b128 v8, v[10:13]
	s_waitcnt vmcnt(1)
	ds_write_b128 v8, v[24:27] offset:528
	s_waitcnt vmcnt(0)
	ds_write_b128 v8, v[28:31] offset:512
	v_mfma_f32_16x16x4_f32 a[24:27], v18, v21, a[24:27]
	s_waitcnt lgkmcnt(0)
	s_barrier
	v_mfma_f32_16x16x4_f32 a[20:23], v18, v22, a[20:23]
	v_mfma_f32_16x16x4_f32 a[16:19], v18, v23, a[16:19]
	;; [unrolled: 1-line block ×6, first 2 shown]
	s_cbranch_scc0 .LBB0_3
.LBB0_4:
	v_add3_u32 v0, s21, v6, v4
	ds_read_b128 v[16:19], v0
	v_add3_u32 v4, s21, v5, v4
	ds_read_b128 v[24:27], v4 offset:512
	ds_read_b128 v[20:23], v0 offset:1024
	;; [unrolled: 1-line block ×3, first 2 shown]
	s_nop 1
	v_accvgpr_read_b32 v50, a0
	v_accvgpr_read_b32 v51, a1
	v_accvgpr_read_b32 v52, a2
	v_accvgpr_read_b32 v53, a3
	ds_read_b128 v[8:11], v0 offset:2048
	ds_read_b128 v[12:15], v4 offset:2560
	;; [unrolled: 1-line block ×4, first 2 shown]
	v_accvgpr_read_b32 v58, a24
	s_waitcnt lgkmcnt(6)
	v_mfma_f32_16x16x4_f32 a[0:3], v16, v24, a[60:63]
	v_accvgpr_read_b32 v59, a25
	v_accvgpr_read_b32 v60, a26
	v_accvgpr_read_b32 v61, a27
	v_accvgpr_read_b32 v62, a28
	v_accvgpr_read_b32 v63, a29
	v_accvgpr_read_b32 v64, a30
	v_accvgpr_read_b32 v65, a31
	s_waitcnt lgkmcnt(4)
	v_mfma_f32_16x16x4_f32 a[0:3], v20, v28, a[0:3]
	v_accvgpr_read_b32 v72, a32
	v_accvgpr_read_b32 v73, a33
	v_accvgpr_read_b32 v74, a34
	v_accvgpr_read_b32 v75, a35
	v_accvgpr_read_b32 v38, a16
	v_accvgpr_read_b32 v39, a17
	;; [unrolled: 9-line block ×3, first 2 shown]
	v_accvgpr_read_b32 v47, a5
	s_waitcnt lgkmcnt(0)
	v_mfma_f32_16x16x4_f32 a[24:27], v0, v4, a[0:3]
	v_accvgpr_read_b32 v48, a6
	v_accvgpr_read_b32 v49, a7
	v_accvgpr_write_b32 a4, v72
	v_accvgpr_write_b32 a5, v73
	;; [unrolled: 1-line block ×4, first 2 shown]
	v_accvgpr_read_b32 v54, a20
	v_mfma_f32_16x16x4_f32 a[0:3], v16, v25, a[56:59]
	v_accvgpr_read_b32 v55, a21
	v_accvgpr_read_b32 v56, a22
	;; [unrolled: 1-line block ×7, first 2 shown]
	v_mfma_f32_16x16x4_f32 a[0:3], v20, v29, a[0:3]
	v_and_b32_e32 v71, 48, v32
	v_accvgpr_write_b32 a59, v53
	v_accvgpr_write_b32 a58, v52
	;; [unrolled: 1-line block ×6, first 2 shown]
	v_mfma_f32_16x16x4_f32 a[0:3], v8, v13, a[0:3]
	v_accvgpr_write_b32 a61, v35
	v_accvgpr_write_b32 a60, v34
	v_mfma_f32_16x16x4_f32 a[28:31], v0, v5, a[0:3]
	v_mfma_f32_16x16x4_f32 a[0:3], v16, v26, a[52:55]
	v_accvgpr_write_b32 a55, v49
	v_accvgpr_write_b32 a54, v48
	;; [unrolled: 1-line block ×4, first 2 shown]
	s_nop 4
	v_accvgpr_read_b32 v108, a28
	v_mfma_f32_16x16x4_f32 a[0:3], v20, v30, a[0:3]
	v_mfma_f32_16x16x4_f32 a[0:3], v8, v14, a[0:3]
	;; [unrolled: 1-line block ×4, first 2 shown]
	v_accvgpr_write_b32 a51, v45
	v_accvgpr_write_b32 a50, v44
	;; [unrolled: 1-line block ×4, first 2 shown]
	s_nop 4
	v_accvgpr_read_b32 v36, a33
	v_accvgpr_read_b32 v34, a35
	;; [unrolled: 1-line block ×3, first 2 shown]
	v_mfma_f32_16x16x4_f32 a[0:3], v20, v31, a[0:3]
	v_mfma_f32_16x16x4_f32 a[0:3], v8, v15, a[0:3]
	v_mov_b32_e32 v8, s8
	v_mfma_f32_16x16x4_f32 a[16:19], v0, v7, a[0:3]
	v_mfma_f32_16x16x4_f32 a[0:3], v17, v24, a[44:47]
	v_accvgpr_write_b32 a47, v41
	v_accvgpr_write_b32 a46, v40
	;; [unrolled: 1-line block ×4, first 2 shown]
	s_nop 4
	v_accvgpr_read_b32 v35, a19
	v_accvgpr_read_b32 v39, a18
	;; [unrolled: 1-line block ×3, first 2 shown]
	v_mfma_f32_16x16x4_f32 a[0:3], v21, v28, a[0:3]
	v_accvgpr_read_b32 v38, a34
	v_mfma_f32_16x16x4_f32 a[0:3], v9, v12, a[0:3]
	v_mfma_f32_16x16x4_f32 a[12:15], v1, v4, a[0:3]
	;; [unrolled: 1-line block ×3, first 2 shown]
	v_accvgpr_write_b32 a40, v54
	v_accvgpr_write_b32 a41, v55
	;; [unrolled: 1-line block ×4, first 2 shown]
	v_mfma_f32_16x16x4_f32 a[0:3], v21, v29, a[0:3]
	v_mfma_f32_16x16x4_f32 a[0:3], v9, v13, a[0:3]
	;; [unrolled: 1-line block ×4, first 2 shown]
	v_accvgpr_write_b32 a36, v58
	v_accvgpr_write_b32 a37, v59
	;; [unrolled: 1-line block ×4, first 2 shown]
	v_mfma_f32_16x16x4_f32 a[4:7], v17, v27, a[4:7]
	v_mfma_f32_16x16x4_f32 a[0:3], v21, v30, a[0:3]
	;; [unrolled: 1-line block ×5, first 2 shown]
	v_mov_b32_e32 v9, s9
	v_mfma_f32_16x16x4_f32 a[0:3], v1, v6, a[0:3]
	v_mfma_f32_16x16x4_f32 a[8:11], v1, v7, a[4:7]
	v_mad_u64_u32 v[0:1], s[0:1], s14, v69, v[68:69]
	v_mov_b32_e32 v1, 0
	v_lshl_add_u64 v[16:17], v[0:1], 2, v[8:9]
	v_mad_u64_u32 v[8:9], s[0:1], s14, v71, v[70:71]
	v_add_u32_e32 v0, s14, v8
	v_lshl_add_u64 v[20:21], v[0:1], 2, v[16:17]
	v_add_u32_e32 v0, s14, v0
	v_lshl_add_u64 v[32:33], v[0:1], 2, v[16:17]
	;; [unrolled: 2-line block ×3, first 2 shown]
	v_add_u32_e32 v0, s14, v0
	v_accvgpr_write_b32 a4, v62
	v_lshl_add_u64 v[56:57], v[0:1], 2, v[16:17]
	v_add_u32_e32 v0, s14, v0
	v_accvgpr_write_b32 a5, v63
	v_accvgpr_write_b32 a6, v64
	;; [unrolled: 1-line block ×3, first 2 shown]
	v_lshl_add_u64 v[64:65], v[0:1], 2, v[16:17]
	v_add_u32_e32 v0, s14, v0
	v_lshl_add_u64 v[96:97], v[0:1], 2, v[16:17]
	v_add_u32_e32 v0, s14, v0
	;; [unrolled: 2-line block ×6, first 2 shown]
	global_load_dwordx4 v[56:59], v[56:57], off
	v_lshl_add_u64 v[104:105], v[0:1], 2, v[16:17]
	v_add_u32_e32 v0, s14, v0
	global_load_dwordx4 v[60:63], v[60:61], off
	v_lshl_add_u64 v[72:73], v[0:1], 2, v[16:17]
	global_load_dwordx4 v[72:75], v[72:73], off
	v_mfma_f32_16x16x4_f32 a[4:7], v18, v24, a[4:7]
	global_load_dwordx4 v[76:79], v[20:21], off
	global_load_dwordx4 v[80:83], v[64:65], off
	;; [unrolled: 1-line block ×3, first 2 shown]
	v_mov_b32_e32 v9, v1
	v_lshl_add_u64 v[8:9], v[8:9], 2, v[16:17]
	v_add_u32_e32 v0, s14, v0
	global_load_dwordx4 v[40:43], v[8:9], off
	v_mfma_f32_16x16x4_f32 a[36:39], v18, v25, a[36:39]
	v_lshl_add_u64 v[8:9], v[0:1], 2, v[16:17]
	global_load_dwordx4 v[88:91], v[8:9], off
	global_load_dwordx4 v[92:95], v[32:33], off
	;; [unrolled: 1-line block ×3, first 2 shown]
	s_nop 0
	global_load_dwordx4 v[96:99], v[96:97], off
	s_nop 0
	global_load_dwordx4 v[52:55], v[100:101], off
	;; [unrolled: 2-line block ×4, first 2 shown]
	v_add_u32_e32 v0, s14, v0
	v_lshl_add_u64 v[20:21], v[0:1], 2, v[16:17]
	v_add_u32_e32 v0, s14, v0
	v_mfma_f32_16x16x4_f32 a[40:43], v18, v26, a[40:43]
	v_lshl_add_u64 v[16:17], v[0:1], 2, v[16:17]
	global_load_dwordx4 v[104:107], v[20:21], off
	global_load_dwordx4 v[48:51], v[16:17], off
	v_accvgpr_read_b32 v16, a27
	v_accvgpr_read_b32 v20, a26
	;; [unrolled: 1-line block ×3, first 2 shown]
	s_mov_b32 s0, s3
	v_accvgpr_read_b32 v33, a29
	v_mfma_f32_16x16x4_f32 a[44:47], v18, v27, a[44:47]
	v_accvgpr_read_b32 v21, a30
	v_accvgpr_read_b32 v17, a31
	v_mov_b32_e32 v8, s10
	v_mov_b32_e32 v9, s11
	s_waitcnt vmcnt(15)
	v_pk_mul_f32 v[56:57], s[0:1], v[56:57] op_sel_hi:[0,1]
	v_mfma_f32_16x16x4_f32 a[4:7], v22, v28, a[4:7]
	v_mul_f32_e64 v58, s0, v58
	v_mul_f32_e64 v59, s0, v59
	v_fma_f32 v56, s2, v32, v56
	v_fma_f32 v57, s2, v33, v57
	s_waitcnt vmcnt(14)
	v_pk_mul_f32 v[32:33], s[0:1], v[60:61] op_sel_hi:[0,1]
	v_pk_fma_f32 v[58:59], s[2:3], v[36:37], v[58:59] op_sel_hi:[0,1,1]
	v_pk_mul_f32 v[60:61], s[0:1], v[62:63] op_sel_hi:[0,1]
	v_accvgpr_read_b32 v62, a14
	v_pk_fma_f32 v[36:37], s[2:3], v[20:21], v[32:33] op_sel_hi:[0,1,1]
	v_mfma_f32_16x16x4_f32 a[36:39], v22, v29, a[36:39]
	v_accvgpr_read_b32 v20, a13
	s_waitcnt vmcnt(13)
	v_mul_f32_e64 v32, s0, v72
	v_mul_f32_e64 v33, s0, v73
	v_accvgpr_read_b32 v72, a12
	v_pk_fma_f32 v[38:39], s[2:3], v[38:39], v[60:61] op_sel_hi:[0,1,1]
	v_pk_mul_f32 v[60:61], s[0:1], v[74:75] op_sel_hi:[0,1]
	v_pk_fma_f32 v[34:35], s[2:3], v[34:35], v[60:61] op_sel_hi:[0,1,1]
	v_accvgpr_read_b32 v60, a0
	v_mfma_f32_16x16x4_f32 a[40:43], v22, v30, a[40:43]
	v_accvgpr_read_b32 v61, a8
	v_accvgpr_read_b32 v73, a20
	v_fma_f32 v32, s2, v16, v32
	v_fma_f32 v33, s2, v17, v33
	s_waitcnt vmcnt(12)
	v_pk_mul_f32 v[16:17], s[0:1], v[76:77] op_sel_hi:[0,1]
	v_accvgpr_read_b32 v21, a21
	v_pk_fma_f32 v[72:73], s[2:3], v[72:73], v[16:17] op_sel_hi:[0,1,1]
	s_waitcnt vmcnt(11)
	v_pk_mul_f32 v[16:17], s[0:1], v[80:81] op_sel_hi:[0,1]
	v_mfma_f32_16x16x4_f32 a[44:47], v22, v31, a[44:47]
	v_accvgpr_read_b32 v22, a16
	v_fma_f32 v76, s2, v20, v16
	v_fma_f32 v77, s2, v21, v17
	s_waitcnt vmcnt(10)
	v_mul_f32_e64 v16, s0, v84
	v_mul_f32_e64 v17, s0, v85
	v_accvgpr_read_b32 v63, a22
	v_pk_fma_f32 v[80:81], s[2:3], v[62:63], v[16:17] op_sel_hi:[0,1,1]
	s_waitcnt vmcnt(8)
	v_pk_mul_f32 v[16:17], s[0:1], v[88:89] op_sel_hi:[0,1]
	v_mul_f32_e32 v0, s3, v43
	v_mfma_f32_16x16x4_f32 a[4:7], v10, v12, a[4:7]
	v_mfma_f32_16x16x4_f32 a[36:39], v10, v13, a[36:39]
	;; [unrolled: 1-line block ×5, first 2 shown]
	v_accvgpr_read_b32 v24, a15
	v_mfma_f32_16x16x4_f32 a[4:7], v2, v4, a[4:7]
	v_mfma_f32_16x16x4_f32 a[36:39], v2, v5, a[36:39]
	s_nop 8
	v_accvgpr_read_b32 v20, a7
	v_accvgpr_read_b32 v110, a6
	;; [unrolled: 1-line block ×3, first 2 shown]
	v_mfma_f32_16x16x4_f32 a[40:43], v2, v6, a[40:43]
	v_accvgpr_read_b32 v85, a36
	v_accvgpr_read_b32 v111, a38
	;; [unrolled: 1-line block ×3, first 2 shown]
	v_mfma_f32_16x16x4_f32 a[44:47], v2, v7, a[44:47]
	v_accvgpr_read_b32 v2, a24
	s_nop 4
	v_accvgpr_read_b32 v88, a41
	v_mfma_f32_16x16x4_f32 a[24:27], v23, v28, a[48:51]
	s_nop 1
	v_accvgpr_read_b32 v89, a45
	v_mfma_f32_16x16x4_f32 a[24:27], v11, v12, a[24:27]
	v_accvgpr_read_b32 v12, a3
	v_mfma_f32_16x16x4_f32 a[16:19], v3, v4, a[24:27]
	;; [unrolled: 2-line block ×4, first 2 shown]
	v_mul_f32_e64 v28, s0, v78
	v_mul_f32_e64 v29, s0, v79
	v_fma_f32 v74, s2, v60, v28
	v_fma_f32 v75, s2, v61, v29
	v_accvgpr_read_b32 v60, a1
	v_accvgpr_read_b32 v61, a9
	v_pk_mul_f32 v[28:29], s[0:1], v[82:83] op_sel_hi:[0,1]
	v_pk_fma_f32 v[78:79], s[2:3], v[60:61], v[28:29] op_sel_hi:[0,1,1]
	v_pk_mul_f32 v[28:29], s[0:1], v[86:87] op_sel_hi:[0,1]
	v_mfma_f32_16x16x4_f32 a[12:15], v11, v13, a[12:15]
	v_accvgpr_read_b32 v13, a11
	v_fma_f32 v60, s2, v24, v16
	v_fma_f32 v61, s2, v25, v17
	s_waitcnt vmcnt(7)
	v_mul_f32_e64 v24, s0, v94
	v_mul_f32_e64 v25, s0, v95
	v_pk_mul_f32 v[16:17], s[0:1], v[92:93] op_sel_hi:[0,1]
	v_pk_fma_f32 v[84:85], s[2:3], v[84:85], v[16:17] op_sel_hi:[0,1,1]
	s_waitcnt vmcnt(5)
	v_pk_mul_f32 v[16:17], s[0:1], v[96:97] op_sel_hi:[0,1]
	v_mfma_f32_16x16x4_f32 a[0:3], v3, v5, a[12:15]
	v_accvgpr_read_b32 v5, a10
	v_fma_f32 v82, s2, v4, v28
	v_fma_f32 v83, s2, v5, v29
	v_accvgpr_read_b32 v4, a5
	v_mul_f32_e64 v28, s0, v90
	v_mul_f32_e64 v29, s0, v91
	v_pk_fma_f32 v[62:63], s[2:3], v[12:13], v[28:29] op_sel_hi:[0,1,1]
	v_accvgpr_read_b32 v28, a40
	v_accvgpr_read_b32 v29, a44
	v_mfma_f32_16x16x4_f32 a[8:11], v19, v26, a[56:59]
	v_fma_f32 v86, s2, v28, v24
	v_fma_f32 v87, s2, v29, v25
	v_accvgpr_read_b32 v28, a42
	v_mul_f32_e64 v24, s0, v98
	v_mul_f32_e64 v25, s0, v99
	v_accvgpr_read_b32 v29, a46
	v_accvgpr_read_b32 v5, a37
	v_pk_fma_f32 v[16:17], s[2:3], v[4:5], v[16:17] op_sel_hi:[0,1,1]
	s_waitcnt vmcnt(3)
	v_pk_mul_f32 v[4:5], s[0:1], v[100:101] op_sel_hi:[0,1]
	v_mfma_f32_16x16x4_f32 a[4:7], v23, v30, a[8:11]
	v_accvgpr_read_b32 v30, a18
	v_accvgpr_read_b32 v12, a43
	;; [unrolled: 1-line block ×3, first 2 shown]
	s_waitcnt vmcnt(1)
	v_mul_f32_e64 v90, s0, v106
	v_mul_f32_e64 v91, s0, v107
	v_pk_fma_f32 v[12:13], s[2:3], v[12:13], v[90:91] op_sel_hi:[0,1,1]
	v_mfma_f32_16x16x4_f32 a[8:11], v19, v27, a[60:63]
	v_mul_f32_e64 v26, s0, v102
	v_mul_f32_e64 v27, s0, v103
	v_fma_f32 v18, s2, v88, v24
	v_fma_f32 v19, s2, v89, v25
	;; [unrolled: 1-line block ×4, first 2 shown]
	v_accvgpr_read_b32 v89, a3
	v_accvgpr_read_b32 v29, a1
	v_pk_fma_f32 v[24:25], s[2:3], v[110:111], v[4:5] op_sel_hi:[0,1,1]
	v_pk_mul_f32 v[4:5], s[0:1], v[104:105] op_sel_hi:[0,1]
	v_mfma_f32_16x16x4_f32 a[8:11], v23, v31, a[8:11]
	v_accvgpr_read_b32 v31, a2
	v_mov_b32_e32 v23, v43
	v_accvgpr_read_b32 v28, a17
	v_accvgpr_read_b32 v88, a19
	v_mfma_f32_16x16x4_f32 a[4:7], v11, v14, a[4:7]
	v_accvgpr_read_b32 v14, a16
	v_mfma_f32_16x16x4_f32 a[8:11], v11, v15, a[8:11]
	v_accvgpr_read_b32 v15, a0
	v_fma_f32 v10, s2, v20, v4
	v_fma_f32 v11, s2, v21, v5
	v_mul_f32_e64 v20, s0, v66
	v_mul_f32_e64 v21, s0, v67
	v_pk_mul_f32 v[4:5], s[0:1], v[64:65] op_sel_hi:[0,1]
	v_pk_fma_f32 v[4:5], s[2:3], v[14:15], v[4:5] op_sel_hi:[0,1,1]
	v_mfma_f32_16x16x4_f32 a[4:7], v3, v6, a[4:7]
	v_mfma_f32_16x16x4_f32 a[0:3], v3, v7, a[8:11]
	v_mov_b32_e32 v3, v40
	v_mul_f32_e64 v2, s2, v2
	v_mul_f32_e64 v3, s3, v3
	s_nop 5
	v_accvgpr_read_b32 v6, a4
	v_accvgpr_read_b32 v66, a5
	;; [unrolled: 1-line block ×5, first 2 shown]
	v_pk_fma_f32 v[6:7], s[2:3], v[6:7], v[20:21] op_sel_hi:[0,1,1]
	v_mov_b32_e32 v20, v41
	v_mov_b32_e32 v21, v42
	v_pk_mul_f32 v[20:21], s[0:1], v[20:21] op_sel_hi:[0,1]
	v_pk_fma_f32 v[64:65], s[2:3], v[108:109], v[20:21] op_sel_hi:[0,1,1]
	v_add_f32_e32 v20, v2, v3
	v_pk_fma_f32 v[2:3], s[2:3], v[22:23], v[0:1] op_sel_hi:[1,1,0]
	v_pk_mul_f32 v[22:23], s[0:1], v[52:53] op_sel_hi:[0,1]
	v_accvgpr_read_b32 v67, a1
	v_pk_fma_f32 v[28:29], s[2:3], v[28:29], v[22:23] op_sel_hi:[0,1,1]
	v_pk_mul_f32 v[22:23], s[0:1], v[54:55] op_sel_hi:[0,1]
	v_pk_mul_f32 v[40:41], s[0:1], v[44:45] op_sel_hi:[0,1]
	v_pk_fma_f32 v[40:41], s[2:3], v[30:31], v[40:41] op_sel_hi:[0,1,1]
	v_pk_fma_f32 v[30:31], s[2:3], v[66:67], v[22:23] op_sel_hi:[0,1,1]
	s_waitcnt vmcnt(0)
	v_pk_mul_f32 v[22:23], s[0:1], v[48:49] op_sel_hi:[0,1]
	v_accvgpr_read_b32 v15, a2
	v_pk_fma_f32 v[44:45], s[2:3], v[88:89], v[22:23] op_sel_hi:[0,1,1]
	v_pk_mul_f32 v[22:23], s[0:1], v[46:47] op_sel_hi:[0,1]
	v_accvgpr_read_b32 v91, a3
	v_pk_fma_f32 v[42:43], s[2:3], v[14:15], v[22:23] op_sel_hi:[0,1,1]
	v_pk_mul_f32 v[14:15], s[0:1], v[50:51] op_sel_hi:[0,1]
	v_pk_fma_f32 v[46:47], s[2:3], v[90:91], v[14:15] op_sel_hi:[0,1,1]
	v_mad_u64_u32 v[14:15], s[0:1], s15, v69, v[68:69]
	v_mov_b32_e32 v15, v1
	v_lshl_add_u64 v[8:9], v[14:15], 2, v[8:9]
	v_mad_u64_u32 v[14:15], s[0:1], s15, v71, v[70:71]
	v_mov_b32_e32 v15, v1
	v_add_u32_e32 v0, s15, v14
	v_lshl_add_u64 v[48:49], v[14:15], 2, v[8:9]
	v_mov_b32_e32 v21, v64
	v_mov_b32_e32 v22, v65
	;; [unrolled: 1-line block ×3, first 2 shown]
	v_lshl_add_u64 v[2:3], v[0:1], 2, v[8:9]
	v_add_u32_e32 v0, s15, v0
	global_store_dwordx4 v[48:49], v[20:23], off
	global_store_dwordx4 v[2:3], v[72:75], off
	v_lshl_add_u64 v[2:3], v[0:1], 2, v[8:9]
	v_add_u32_e32 v0, s15, v0
	global_store_dwordx4 v[2:3], v[84:87], off
	v_lshl_add_u64 v[2:3], v[0:1], 2, v[8:9]
	v_add_u32_e32 v0, s15, v0
	;; [unrolled: 3-line block ×13, first 2 shown]
	v_lshl_add_u64 v[0:1], v[0:1], 2, v[8:9]
	global_store_dwordx4 v[2:3], v[10:13], off
	global_store_dwordx4 v[0:1], v[44:47], off
.LBB0_5:
	s_endpgm
	.section	.rodata,"a",@progbits
	.p2align	6, 0x0
	.amdhsa_kernel _Z15sgemm_rocwmma_djjjPKfS0_S0_Pfjjjjff
		.amdhsa_group_segment_fixed_size 0
		.amdhsa_private_segment_fixed_size 0
		.amdhsa_kernarg_size 72
		.amdhsa_user_sgpr_count 2
		.amdhsa_user_sgpr_dispatch_ptr 0
		.amdhsa_user_sgpr_queue_ptr 0
		.amdhsa_user_sgpr_kernarg_segment_ptr 1
		.amdhsa_user_sgpr_dispatch_id 0
		.amdhsa_user_sgpr_kernarg_preload_length 0
		.amdhsa_user_sgpr_kernarg_preload_offset 0
		.amdhsa_user_sgpr_private_segment_size 0
		.amdhsa_uses_dynamic_stack 0
		.amdhsa_enable_private_segment 0
		.amdhsa_system_sgpr_workgroup_id_x 1
		.amdhsa_system_sgpr_workgroup_id_y 1
		.amdhsa_system_sgpr_workgroup_id_z 0
		.amdhsa_system_sgpr_workgroup_info 0
		.amdhsa_system_vgpr_workitem_id 1
		.amdhsa_next_free_vgpr 176
		.amdhsa_next_free_sgpr 24
		.amdhsa_accum_offset 112
		.amdhsa_reserve_vcc 1
		.amdhsa_float_round_mode_32 0
		.amdhsa_float_round_mode_16_64 0
		.amdhsa_float_denorm_mode_32 3
		.amdhsa_float_denorm_mode_16_64 3
		.amdhsa_dx10_clamp 1
		.amdhsa_ieee_mode 1
		.amdhsa_fp16_overflow 0
		.amdhsa_tg_split 0
		.amdhsa_exception_fp_ieee_invalid_op 0
		.amdhsa_exception_fp_denorm_src 0
		.amdhsa_exception_fp_ieee_div_zero 0
		.amdhsa_exception_fp_ieee_overflow 0
		.amdhsa_exception_fp_ieee_underflow 0
		.amdhsa_exception_fp_ieee_inexact 0
		.amdhsa_exception_int_div_zero 0
	.end_amdhsa_kernel
	.text
.Lfunc_end0:
	.size	_Z15sgemm_rocwmma_djjjPKfS0_S0_Pfjjjjff, .Lfunc_end0-_Z15sgemm_rocwmma_djjjPKfS0_S0_Pfjjjjff
                                        ; -- End function
	.set _Z15sgemm_rocwmma_djjjPKfS0_S0_Pfjjjjff.num_vgpr, 112
	.set _Z15sgemm_rocwmma_djjjPKfS0_S0_Pfjjjjff.num_agpr, 64
	.set _Z15sgemm_rocwmma_djjjPKfS0_S0_Pfjjjjff.numbered_sgpr, 24
	.set _Z15sgemm_rocwmma_djjjPKfS0_S0_Pfjjjjff.num_named_barrier, 0
	.set _Z15sgemm_rocwmma_djjjPKfS0_S0_Pfjjjjff.private_seg_size, 0
	.set _Z15sgemm_rocwmma_djjjPKfS0_S0_Pfjjjjff.uses_vcc, 1
	.set _Z15sgemm_rocwmma_djjjPKfS0_S0_Pfjjjjff.uses_flat_scratch, 0
	.set _Z15sgemm_rocwmma_djjjPKfS0_S0_Pfjjjjff.has_dyn_sized_stack, 0
	.set _Z15sgemm_rocwmma_djjjPKfS0_S0_Pfjjjjff.has_recursion, 0
	.set _Z15sgemm_rocwmma_djjjPKfS0_S0_Pfjjjjff.has_indirect_call, 0
	.section	.AMDGPU.csdata,"",@progbits
; Kernel info:
; codeLenInByte = 5448
; TotalNumSgprs: 30
; NumVgprs: 112
; NumAgprs: 64
; TotalNumVgprs: 176
; ScratchSize: 0
; MemoryBound: 0
; FloatMode: 240
; IeeeMode: 1
; LDSByteSize: 0 bytes/workgroup (compile time only)
; SGPRBlocks: 3
; VGPRBlocks: 21
; NumSGPRsForWavesPerEU: 30
; NumVGPRsForWavesPerEU: 176
; AccumOffset: 112
; Occupancy: 2
; WaveLimiterHint : 0
; COMPUTE_PGM_RSRC2:SCRATCH_EN: 0
; COMPUTE_PGM_RSRC2:USER_SGPR: 2
; COMPUTE_PGM_RSRC2:TRAP_HANDLER: 0
; COMPUTE_PGM_RSRC2:TGID_X_EN: 1
; COMPUTE_PGM_RSRC2:TGID_Y_EN: 1
; COMPUTE_PGM_RSRC2:TGID_Z_EN: 0
; COMPUTE_PGM_RSRC2:TIDIG_COMP_CNT: 1
; COMPUTE_PGM_RSRC3_GFX90A:ACCUM_OFFSET: 27
; COMPUTE_PGM_RSRC3_GFX90A:TG_SPLIT: 0
	.text
	.p2alignl 6, 3212836864
	.fill 256, 4, 3212836864
	.section	.AMDGPU.gpr_maximums,"",@progbits
	.set amdgpu.max_num_vgpr, 0
	.set amdgpu.max_num_agpr, 0
	.set amdgpu.max_num_sgpr, 0
	.text
	.type	__hip_cuid_f3119a5314481454,@object ; @__hip_cuid_f3119a5314481454
	.section	.bss,"aw",@nobits
	.globl	__hip_cuid_f3119a5314481454
__hip_cuid_f3119a5314481454:
	.byte	0                               ; 0x0
	.size	__hip_cuid_f3119a5314481454, 1

	.ident	"AMD clang version 22.0.0git (https://github.com/RadeonOpenCompute/llvm-project roc-7.2.4 26084 f58b06dce1f9c15707c5f808fd002e18c2accf7e)"
	.section	".note.GNU-stack","",@progbits
	.addrsig
	.addrsig_sym __hip_cuid_f3119a5314481454
	.amdgpu_metadata
---
amdhsa.kernels:
  - .agpr_count:     64
    .args:
      - .offset:         0
        .size:           4
        .value_kind:     by_value
      - .offset:         4
        .size:           4
        .value_kind:     by_value
      - .offset:         8
        .size:           4
        .value_kind:     by_value
      - .address_space:  global
        .offset:         16
        .size:           8
        .value_kind:     global_buffer
      - .address_space:  global
        .offset:         24
        .size:           8
        .value_kind:     global_buffer
      - .address_space:  global
        .offset:         32
        .size:           8
        .value_kind:     global_buffer
      - .address_space:  global
        .offset:         40
        .size:           8
        .value_kind:     global_buffer
      - .offset:         48
        .size:           4
        .value_kind:     by_value
      - .offset:         52
        .size:           4
        .value_kind:     by_value
      - .offset:         56
        .size:           4
        .value_kind:     by_value
      - .offset:         60
        .size:           4
        .value_kind:     by_value
      - .offset:         64
        .size:           4
        .value_kind:     by_value
      - .offset:         68
        .size:           4
        .value_kind:     by_value
    .group_segment_fixed_size: 0
    .kernarg_segment_align: 8
    .kernarg_segment_size: 72
    .language:       OpenCL C
    .language_version:
      - 2
      - 0
    .max_flat_workgroup_size: 256
    .name:           _Z15sgemm_rocwmma_djjjPKfS0_S0_Pfjjjjff
    .private_segment_fixed_size: 0
    .sgpr_count:     30
    .sgpr_spill_count: 0
    .symbol:         _Z15sgemm_rocwmma_djjjPKfS0_S0_Pfjjjjff.kd
    .uniform_work_group_size: 1
    .uses_dynamic_stack: false
    .vgpr_count:     176
    .vgpr_spill_count: 0
    .wavefront_size: 64
amdhsa.target:   amdgcn-amd-amdhsa--gfx950
amdhsa.version:
  - 1
  - 2
...

	.end_amdgpu_metadata
